;; amdgpu-corpus repo=ROCm/rocFFT kind=compiled arch=gfx950 opt=O3
	.text
	.amdgcn_target "amdgcn-amd-amdhsa--gfx950"
	.amdhsa_code_object_version 6
	.protected	fft_rtc_fwd_len44_factors_11_4_wgs_64_tpt_4_halfLds_half_op_CI_CI_unitstride_sbrr_C2R_dirReg ; -- Begin function fft_rtc_fwd_len44_factors_11_4_wgs_64_tpt_4_halfLds_half_op_CI_CI_unitstride_sbrr_C2R_dirReg
	.globl	fft_rtc_fwd_len44_factors_11_4_wgs_64_tpt_4_halfLds_half_op_CI_CI_unitstride_sbrr_C2R_dirReg
	.p2align	8
	.type	fft_rtc_fwd_len44_factors_11_4_wgs_64_tpt_4_halfLds_half_op_CI_CI_unitstride_sbrr_C2R_dirReg,@function
fft_rtc_fwd_len44_factors_11_4_wgs_64_tpt_4_halfLds_half_op_CI_CI_unitstride_sbrr_C2R_dirReg: ; @fft_rtc_fwd_len44_factors_11_4_wgs_64_tpt_4_halfLds_half_op_CI_CI_unitstride_sbrr_C2R_dirReg
; %bb.0:
	s_load_dwordx4 s[4:7], s[0:1], 0x58
	s_load_dwordx4 s[8:11], s[0:1], 0x0
	;; [unrolled: 1-line block ×3, first 2 shown]
	v_lshrrev_b32_e32 v1, 2, v0
	v_lshl_or_b32 v10, s2, 4, v1
	v_mov_b32_e32 v6, 0
	s_waitcnt lgkmcnt(0)
	v_cmp_lt_u64_e64 s[2:3], s[10:11], 2
	v_mov_b32_e32 v11, v6
	s_and_b64 vcc, exec, s[2:3]
	v_mov_b64_e32 v[8:9], 0
	s_cbranch_vccnz .LBB0_8
; %bb.1:
	s_load_dwordx2 s[2:3], s[0:1], 0x10
	s_add_u32 s16, s14, 8
	s_addc_u32 s17, s15, 0
	s_add_u32 s18, s12, 8
	s_addc_u32 s19, s13, 0
	s_waitcnt lgkmcnt(0)
	s_add_u32 s20, s2, 8
	v_mov_b64_e32 v[8:9], 0
	s_addc_u32 s21, s3, 0
	s_mov_b64 s[22:23], 1
	v_mov_b64_e32 v[2:3], v[8:9]
.LBB0_2:                                ; =>This Inner Loop Header: Depth=1
	s_load_dwordx2 s[24:25], s[20:21], 0x0
                                        ; implicit-def: $vgpr4_vgpr5
	s_waitcnt lgkmcnt(0)
	v_or_b32_e32 v7, s25, v11
	v_cmp_ne_u64_e32 vcc, 0, v[6:7]
	s_and_saveexec_b64 s[2:3], vcc
	s_xor_b64 s[26:27], exec, s[2:3]
	s_cbranch_execz .LBB0_4
; %bb.3:                                ;   in Loop: Header=BB0_2 Depth=1
	v_cvt_f32_u32_e32 v4, s24
	v_cvt_f32_u32_e32 v5, s25
	s_sub_u32 s2, 0, s24
	s_subb_u32 s3, 0, s25
	v_fmac_f32_e32 v4, 0x4f800000, v5
	v_rcp_f32_e32 v4, v4
	s_nop 0
	v_mul_f32_e32 v4, 0x5f7ffffc, v4
	v_mul_f32_e32 v5, 0x2f800000, v4
	v_trunc_f32_e32 v5, v5
	v_fmac_f32_e32 v4, 0xcf800000, v5
	v_cvt_u32_f32_e32 v7, v5
	v_cvt_u32_f32_e32 v14, v4
	v_mul_lo_u32 v4, s2, v7
	v_mul_hi_u32 v12, s2, v14
	v_mul_lo_u32 v5, s3, v14
	v_add_u32_e32 v12, v12, v4
	v_mul_lo_u32 v15, s2, v14
	v_add_u32_e32 v16, v12, v5
	v_mul_hi_u32 v4, v14, v15
	v_mul_hi_u32 v13, v14, v16
	v_mul_lo_u32 v12, v14, v16
	v_mov_b32_e32 v5, v6
	v_lshl_add_u64 v[4:5], v[4:5], 0, v[12:13]
	v_mul_hi_u32 v13, v7, v15
	v_mul_lo_u32 v15, v7, v15
	v_add_co_u32_e32 v4, vcc, v4, v15
	v_mul_hi_u32 v12, v7, v16
	s_nop 0
	v_addc_co_u32_e32 v4, vcc, v5, v13, vcc
	v_mov_b32_e32 v5, v6
	s_nop 0
	v_addc_co_u32_e32 v13, vcc, 0, v12, vcc
	v_mul_lo_u32 v12, v7, v16
	v_lshl_add_u64 v[4:5], v[4:5], 0, v[12:13]
	v_add_co_u32_e32 v14, vcc, v14, v4
	v_mul_lo_u32 v12, s2, v14
	s_nop 0
	v_addc_co_u32_e32 v7, vcc, v7, v5, vcc
	v_mul_lo_u32 v4, s2, v7
	v_mul_hi_u32 v5, s2, v14
	v_add_u32_e32 v4, v5, v4
	v_mul_lo_u32 v5, s3, v14
	v_add_u32_e32 v15, v4, v5
	v_mul_hi_u32 v17, v7, v12
	v_mul_lo_u32 v18, v7, v12
	v_mul_hi_u32 v5, v14, v15
	v_mul_lo_u32 v4, v14, v15
	v_mul_hi_u32 v12, v14, v12
	v_mov_b32_e32 v13, v6
	v_lshl_add_u64 v[4:5], v[12:13], 0, v[4:5]
	v_add_co_u32_e32 v4, vcc, v4, v18
	v_mul_hi_u32 v16, v7, v15
	s_nop 0
	v_addc_co_u32_e32 v4, vcc, v5, v17, vcc
	v_mul_lo_u32 v12, v7, v15
	s_nop 0
	v_addc_co_u32_e32 v13, vcc, 0, v16, vcc
	v_mov_b32_e32 v5, v6
	v_lshl_add_u64 v[4:5], v[4:5], 0, v[12:13]
	v_add_co_u32_e32 v14, vcc, v14, v4
	v_mul_hi_u32 v12, v10, v14
	s_nop 0
	v_addc_co_u32_e32 v7, vcc, v7, v5, vcc
	v_mad_u64_u32 v[4:5], s[2:3], v10, v7, 0
	v_mov_b32_e32 v13, v6
	v_lshl_add_u64 v[4:5], v[12:13], 0, v[4:5]
	v_mad_u64_u32 v[14:15], s[2:3], v11, v14, 0
	v_add_co_u32_e32 v4, vcc, v4, v14
	v_mad_u64_u32 v[12:13], s[2:3], v11, v7, 0
	s_nop 0
	v_addc_co_u32_e32 v4, vcc, v5, v15, vcc
	v_mov_b32_e32 v5, v6
	s_nop 0
	v_addc_co_u32_e32 v13, vcc, 0, v13, vcc
	v_lshl_add_u64 v[4:5], v[4:5], 0, v[12:13]
	v_mul_lo_u32 v7, s25, v4
	v_mul_lo_u32 v14, s24, v5
	v_mad_u64_u32 v[12:13], s[2:3], s24, v4, 0
	v_add3_u32 v7, v13, v14, v7
	v_sub_u32_e32 v13, v11, v7
	v_mov_b32_e32 v14, s25
	v_sub_co_u32_e32 v16, vcc, v10, v12
	s_nop 1
	v_subb_co_u32_e64 v12, s[2:3], v13, v14, vcc
	v_subrev_co_u32_e64 v13, s[2:3], s24, v16
	v_subb_co_u32_e32 v7, vcc, v11, v7, vcc
	s_nop 0
	v_subbrev_co_u32_e64 v12, s[2:3], 0, v12, s[2:3]
	v_cmp_le_u32_e64 s[2:3], s25, v12
	v_cmp_le_u32_e32 vcc, s25, v7
	s_nop 0
	v_cndmask_b32_e64 v14, 0, -1, s[2:3]
	v_cmp_le_u32_e64 s[2:3], s24, v13
	s_nop 1
	v_cndmask_b32_e64 v13, 0, -1, s[2:3]
	v_cmp_eq_u32_e64 s[2:3], s25, v12
	s_nop 1
	v_cndmask_b32_e64 v17, v14, v13, s[2:3]
	v_lshl_add_u64 v[12:13], v[4:5], 0, 2
	v_lshl_add_u64 v[14:15], v[4:5], 0, 1
	v_cmp_ne_u32_e64 s[2:3], 0, v17
	s_nop 1
	v_cndmask_b32_e64 v13, v15, v13, s[2:3]
	v_cndmask_b32_e64 v15, 0, -1, vcc
	v_cmp_le_u32_e32 vcc, s24, v16
	s_nop 1
	v_cndmask_b32_e64 v16, 0, -1, vcc
	v_cmp_eq_u32_e32 vcc, s25, v7
	s_nop 1
	v_cndmask_b32_e32 v7, v15, v16, vcc
	v_cmp_ne_u32_e32 vcc, 0, v7
	v_cndmask_b32_e64 v7, v14, v12, s[2:3]
	s_nop 0
	v_cndmask_b32_e32 v5, v5, v13, vcc
	v_cndmask_b32_e32 v4, v4, v7, vcc
.LBB0_4:                                ;   in Loop: Header=BB0_2 Depth=1
	s_andn2_saveexec_b64 s[2:3], s[26:27]
	s_cbranch_execz .LBB0_6
; %bb.5:                                ;   in Loop: Header=BB0_2 Depth=1
	v_cvt_f32_u32_e32 v4, s24
	s_sub_i32 s26, 0, s24
	v_rcp_iflag_f32_e32 v4, v4
	s_nop 0
	v_mul_f32_e32 v4, 0x4f7ffffe, v4
	v_cvt_u32_f32_e32 v4, v4
	v_mul_lo_u32 v5, s26, v4
	v_mul_hi_u32 v5, v4, v5
	v_add_u32_e32 v4, v4, v5
	v_mul_hi_u32 v4, v10, v4
	v_mul_lo_u32 v5, v4, s24
	v_sub_u32_e32 v5, v10, v5
	v_add_u32_e32 v7, 1, v4
	v_subrev_u32_e32 v12, s24, v5
	v_cmp_le_u32_e32 vcc, s24, v5
	s_nop 1
	v_cndmask_b32_e32 v5, v5, v12, vcc
	v_cndmask_b32_e32 v4, v4, v7, vcc
	v_add_u32_e32 v7, 1, v4
	v_cmp_le_u32_e32 vcc, s24, v5
	v_mov_b32_e32 v5, v6
	s_nop 0
	v_cndmask_b32_e32 v4, v4, v7, vcc
.LBB0_6:                                ;   in Loop: Header=BB0_2 Depth=1
	s_or_b64 exec, exec, s[2:3]
	v_mad_u64_u32 v[12:13], s[2:3], v4, s24, 0
	s_load_dwordx2 s[2:3], s[18:19], 0x0
	v_mul_lo_u32 v7, v5, s24
	v_mul_lo_u32 v14, v4, s25
	s_load_dwordx2 s[24:25], s[16:17], 0x0
	s_add_u32 s22, s22, 1
	v_add3_u32 v7, v13, v14, v7
	v_sub_co_u32_e32 v10, vcc, v10, v12
	s_addc_u32 s23, s23, 0
	s_nop 0
	v_subb_co_u32_e32 v7, vcc, v11, v7, vcc
	s_add_u32 s16, s16, 8
	s_waitcnt lgkmcnt(0)
	v_mul_lo_u32 v11, s2, v7
	v_mul_lo_u32 v12, s3, v10
	v_mad_u64_u32 v[8:9], s[2:3], s2, v10, v[8:9]
	s_addc_u32 s17, s17, 0
	v_add3_u32 v9, v12, v9, v11
	v_mul_lo_u32 v7, s24, v7
	v_mul_lo_u32 v11, s25, v10
	v_mad_u64_u32 v[2:3], s[2:3], s24, v10, v[2:3]
	s_add_u32 s18, s18, 8
	v_add3_u32 v3, v11, v3, v7
	s_addc_u32 s19, s19, 0
	v_mov_b64_e32 v[10:11], s[10:11]
	s_add_u32 s20, s20, 8
	v_cmp_ge_u64_e32 vcc, s[22:23], v[10:11]
	s_addc_u32 s21, s21, 0
	s_cbranch_vccnz .LBB0_9
; %bb.7:                                ;   in Loop: Header=BB0_2 Depth=1
	v_mov_b64_e32 v[10:11], v[4:5]
	s_branch .LBB0_2
.LBB0_8:
	v_mov_b64_e32 v[2:3], v[8:9]
	v_mov_b64_e32 v[4:5], v[10:11]
.LBB0_9:
	s_load_dwordx2 s[0:1], s[0:1], 0x28
	s_lshl_b64 s[16:17], s[10:11], 3
	s_add_u32 s10, s14, s16
	s_addc_u32 s11, s15, s17
	v_and_b32_e32 v6, 3, v0
	s_waitcnt lgkmcnt(0)
	v_cmp_gt_u64_e32 vcc, s[0:1], v[4:5]
	v_cmp_le_u64_e64 s[0:1], s[0:1], v[4:5]
	s_and_saveexec_b64 s[2:3], s[0:1]
	s_xor_b64 s[0:1], exec, s[2:3]
; %bb.10:
	v_and_b32_e32 v6, 3, v0
                                        ; implicit-def: $vgpr8_vgpr9
; %bb.11:
	s_or_saveexec_b64 s[2:3], s[0:1]
	s_load_dwordx2 s[10:11], s[10:11], 0x0
	v_mul_u32_u24_e32 v10, 45, v1
	s_xor_b64 exec, exec, s[2:3]
	s_cbranch_execz .LBB0_15
; %bb.12:
	s_add_u32 s0, s12, s16
	s_addc_u32 s1, s13, s17
	s_load_dwordx2 s[0:1], s[0:1], 0x0
	v_lshlrev_b32_e32 v12, 2, v6
	v_mov_b32_e32 v13, 0
	s_waitcnt lgkmcnt(0)
	v_mul_lo_u32 v7, s1, v4
	v_mul_lo_u32 v11, s0, v5
	v_mad_u64_u32 v[0:1], s[0:1], s0, v4, 0
	v_add3_u32 v1, v1, v11, v7
	v_lshl_add_u64 v[0:1], v[0:1], 2, s[4:5]
	v_lshl_add_u64 v[0:1], v[8:9], 2, v[0:1]
	;; [unrolled: 1-line block ×3, first 2 shown]
	global_load_dword v11, v[8:9], off
	global_load_dword v13, v[8:9], off offset:16
	global_load_dword v14, v[8:9], off offset:32
	;; [unrolled: 1-line block ×10, first 2 shown]
	v_lshlrev_b32_e32 v7, 2, v10
	v_add3_u32 v7, 0, v7, v12
	v_cmp_eq_u32_e64 s[0:1], 3, v6
	s_waitcnt vmcnt(9)
	ds_write2_b32 v7, v11, v13 offset1:4
	s_waitcnt vmcnt(7)
	ds_write2_b32 v7, v14, v15 offset0:8 offset1:12
	s_waitcnt vmcnt(5)
	ds_write2_b32 v7, v16, v17 offset0:16 offset1:20
	;; [unrolled: 2-line block ×4, first 2 shown]
	s_waitcnt vmcnt(0)
	ds_write_b32 v7, v22 offset:160
	s_and_saveexec_b64 s[4:5], s[0:1]
	s_cbranch_execz .LBB0_14
; %bb.13:
	global_load_dword v0, v[0:1], off offset:176
	v_mov_b32_e32 v6, 3
	s_waitcnt vmcnt(0)
	ds_write_b32 v7, v0 offset:164
.LBB0_14:
	s_or_b64 exec, exec, s[4:5]
.LBB0_15:
	s_or_b64 exec, exec, s[2:3]
	v_lshl_add_u32 v16, v10, 2, 0
	v_lshlrev_b32_e32 v0, 2, v6
	v_add_u32_e32 v9, v16, v0
	s_waitcnt lgkmcnt(0)
	; wave barrier
	s_waitcnt lgkmcnt(0)
	v_sub_u32_e32 v8, v16, v0
	ds_read_u16 v13, v9
	ds_read_u16 v14, v8 offset:176
	v_cmp_ne_u32_e64 s[0:1], 0, v6
                                        ; implicit-def: $vgpr0_vgpr1
	s_waitcnt lgkmcnt(0)
	v_add_f16_e32 v11, v14, v13
	v_sub_f16_e32 v12, v13, v14
	s_and_saveexec_b64 s[2:3], s[0:1]
	s_xor_b64 s[0:1], exec, s[2:3]
	s_cbranch_execz .LBB0_17
; %bb.16:
	v_mov_b32_e32 v7, 0
	v_lshl_add_u64 v[0:1], v[6:7], 2, s[8:9]
	global_load_dword v0, v[0:1], off offset:132
	ds_read_u16 v1, v8 offset:178
	ds_read_u16 v11, v9 offset:2
	v_add_f16_e32 v12, v14, v13
	v_sub_f16_e32 v13, v13, v14
	s_waitcnt lgkmcnt(0)
	v_add_f16_e32 v14, v1, v11
	v_sub_f16_e32 v1, v11, v1
	s_waitcnt vmcnt(0)
	v_lshrrev_b32_e32 v11, 16, v0
	v_fma_f16 v15, v13, v11, v12
	v_fma_f16 v17, v14, v11, v1
	v_fma_f16 v18, -v13, v11, v12
	v_fma_f16 v1, v14, v11, -v1
	v_fma_f16 v11, -v0, v14, v15
	v_fma_f16 v12, v13, v0, v17
	v_fma_f16 v14, v0, v14, v18
	;; [unrolled: 1-line block ×3, first 2 shown]
	v_pack_b32_f16 v0, v14, v0
	ds_write_b32 v8, v0 offset:176
	v_mov_b64_e32 v[0:1], v[6:7]
.LBB0_17:
	s_andn2_saveexec_b64 s[0:1], s[0:1]
	s_cbranch_execz .LBB0_19
; %bb.18:
	ds_read_b32 v0, v16 offset:88
	s_mov_b32 s2, 0xc0004000
	s_waitcnt lgkmcnt(0)
	v_pk_mul_f16 v0, v0, s2
	ds_write_b32 v16, v0 offset:88
	v_mov_b64_e32 v[0:1], 0
.LBB0_19:
	s_or_b64 exec, exec, s[0:1]
	s_add_u32 s0, s8, 0x84
	s_addc_u32 s1, s9, 0
	v_lshl_add_u64 v[0:1], v[0:1], 2, s[0:1]
	global_load_dword v7, v[0:1], off offset:16
	global_load_dword v13, v[0:1], off offset:32
	global_load_dword v14, v[0:1], off offset:48
	global_load_dword v15, v[0:1], off offset:64
	s_mov_b32 s0, 0x5040100
	v_perm_b32 v11, v12, v11, s0
	ds_write_b32 v9, v11
	ds_read_b32 v11, v9 offset:16
	ds_read_b32 v12, v8 offset:160
	s_waitcnt lgkmcnt(0)
	v_add_f16_e32 v17, v11, v12
	v_add_f16_sdwa v18, v12, v11 dst_sel:DWORD dst_unused:UNUSED_PAD src0_sel:WORD_1 src1_sel:WORD_1
	v_sub_f16_e32 v19, v11, v12
	v_sub_f16_sdwa v11, v11, v12 dst_sel:DWORD dst_unused:UNUSED_PAD src0_sel:WORD_1 src1_sel:WORD_1
	s_waitcnt vmcnt(3)
	v_lshrrev_b32_e32 v12, 16, v7
	v_fma_f16 v20, v19, v12, v17
	v_fma_f16 v21, v18, v12, v11
	v_fma_f16 v17, -v19, v12, v17
	v_fma_f16 v11, v18, v12, -v11
	v_fma_f16 v12, -v7, v18, v20
	v_fma_f16 v20, v19, v7, v21
	v_fma_f16 v17, v7, v18, v17
	;; [unrolled: 1-line block ×3, first 2 shown]
	v_pack_b32_f16 v11, v12, v20
	v_pack_b32_f16 v7, v17, v7
	ds_write_b32 v9, v11 offset:16
	ds_write_b32 v8, v7 offset:160
	ds_read_b32 v7, v9 offset:32
	ds_read_b32 v11, v8 offset:144
	s_waitcnt vmcnt(2)
	v_lshrrev_b32_e32 v12, 16, v13
	s_waitcnt lgkmcnt(0)
	v_add_f16_e32 v17, v7, v11
	v_add_f16_sdwa v18, v11, v7 dst_sel:DWORD dst_unused:UNUSED_PAD src0_sel:WORD_1 src1_sel:WORD_1
	v_sub_f16_e32 v19, v7, v11
	v_sub_f16_sdwa v7, v7, v11 dst_sel:DWORD dst_unused:UNUSED_PAD src0_sel:WORD_1 src1_sel:WORD_1
	v_fma_f16 v11, v19, v12, v17
	v_fma_f16 v20, v18, v12, v7
	v_fma_f16 v17, -v19, v12, v17
	v_fma_f16 v7, v18, v12, -v7
	v_fma_f16 v11, -v13, v18, v11
	v_fma_f16 v12, v19, v13, v20
	v_fma_f16 v17, v13, v18, v17
	;; [unrolled: 1-line block ×3, first 2 shown]
	v_pack_b32_f16 v11, v11, v12
	v_pack_b32_f16 v7, v17, v7
	ds_write_b32 v9, v11 offset:32
	ds_write_b32 v8, v7 offset:144
	ds_read_b32 v7, v9 offset:48
	ds_read_b32 v11, v8 offset:128
	s_waitcnt vmcnt(1)
	v_lshrrev_b32_e32 v12, 16, v14
	s_waitcnt lgkmcnt(0)
	v_add_f16_e32 v13, v7, v11
	v_add_f16_sdwa v17, v11, v7 dst_sel:DWORD dst_unused:UNUSED_PAD src0_sel:WORD_1 src1_sel:WORD_1
	v_sub_f16_e32 v18, v7, v11
	v_sub_f16_sdwa v7, v7, v11 dst_sel:DWORD dst_unused:UNUSED_PAD src0_sel:WORD_1 src1_sel:WORD_1
	v_fma_f16 v11, v18, v12, v13
	v_fma_f16 v19, v17, v12, v7
	v_fma_f16 v13, -v18, v12, v13
	v_fma_f16 v7, v17, v12, -v7
	v_fma_f16 v11, -v14, v17, v11
	v_fma_f16 v12, v18, v14, v19
	v_fma_f16 v13, v14, v17, v13
	;; [unrolled: 1-line block ×3, first 2 shown]
	v_pack_b32_f16 v11, v11, v12
	v_pack_b32_f16 v7, v13, v7
	ds_write_b32 v9, v11 offset:48
	ds_write_b32 v8, v7 offset:128
	ds_read_b32 v7, v9 offset:64
	ds_read_b32 v11, v8 offset:112
	s_waitcnt vmcnt(0)
	v_lshrrev_b32_e32 v13, 16, v15
	v_or_b32_e32 v12, 20, v6
	v_cmp_gt_u32_e64 s[0:1], 22, v12
	s_waitcnt lgkmcnt(0)
	v_add_f16_e32 v14, v7, v11
	v_add_f16_sdwa v17, v11, v7 dst_sel:DWORD dst_unused:UNUSED_PAD src0_sel:WORD_1 src1_sel:WORD_1
	v_sub_f16_e32 v18, v7, v11
	v_sub_f16_sdwa v7, v7, v11 dst_sel:DWORD dst_unused:UNUSED_PAD src0_sel:WORD_1 src1_sel:WORD_1
	v_fma_f16 v11, v18, v13, v14
	v_fma_f16 v19, v17, v13, v7
	v_fma_f16 v14, -v18, v13, v14
	v_fma_f16 v7, v17, v13, -v7
	v_fma_f16 v11, -v15, v17, v11
	v_fma_f16 v13, v18, v15, v19
	v_fma_f16 v14, v15, v17, v14
	;; [unrolled: 1-line block ×3, first 2 shown]
	v_pack_b32_f16 v11, v11, v13
	v_pack_b32_f16 v7, v14, v7
	ds_write_b32 v9, v11 offset:64
	ds_write_b32 v8, v7 offset:112
	s_and_saveexec_b64 s[2:3], s[0:1]
	s_cbranch_execz .LBB0_21
; %bb.20:
	global_load_dword v0, v[0:1], off offset:80
	ds_read_b32 v1, v9 offset:80
	ds_read_b32 v7, v8 offset:96
	s_waitcnt lgkmcnt(0)
	v_add_f16_e32 v11, v1, v7
	v_add_f16_sdwa v12, v7, v1 dst_sel:DWORD dst_unused:UNUSED_PAD src0_sel:WORD_1 src1_sel:WORD_1
	v_sub_f16_e32 v13, v1, v7
	v_sub_f16_sdwa v1, v1, v7 dst_sel:DWORD dst_unused:UNUSED_PAD src0_sel:WORD_1 src1_sel:WORD_1
	s_waitcnt vmcnt(0)
	v_lshrrev_b32_e32 v7, 16, v0
	v_fma_f16 v14, v13, v7, v11
	v_fma_f16 v15, v12, v7, v1
	v_fma_f16 v11, -v13, v7, v11
	v_fma_f16 v1, v12, v7, -v1
	v_fma_f16 v7, -v0, v12, v14
	v_fma_f16 v14, v13, v0, v15
	v_fma_f16 v11, v0, v12, v11
	;; [unrolled: 1-line block ×3, first 2 shown]
	v_pack_b32_f16 v1, v7, v14
	v_pack_b32_f16 v0, v11, v0
	ds_write_b32 v9, v1 offset:80
	ds_write_b32 v8, v0 offset:96
.LBB0_21:
	s_or_b64 exec, exec, s[2:3]
	s_waitcnt lgkmcnt(0)
	; wave barrier
	s_waitcnt lgkmcnt(0)
	s_waitcnt lgkmcnt(0)
	; wave barrier
	s_waitcnt lgkmcnt(0)
	ds_read_b32 v8, v9
	v_lshl_add_u32 v0, v6, 2, 0
	v_lshl_add_u32 v7, v10, 2, v0
	ds_read2_b32 v[0:1], v7 offset0:4 offset1:8
	ds_read2_b32 v[10:11], v7 offset0:12 offset1:16
	;; [unrolled: 1-line block ×5, first 2 shown]
	s_movk_i32 s2, 0x3abb
	s_waitcnt lgkmcnt(4)
	v_add_f16_e32 v17, v8, v0
	v_add_f16_sdwa v20, v8, v0 dst_sel:DWORD dst_unused:UNUSED_PAD src0_sel:WORD_1 src1_sel:WORD_1
	v_add_f16_e32 v17, v17, v1
	v_add_f16_sdwa v20, v20, v1 dst_sel:DWORD dst_unused:UNUSED_PAD src0_sel:DWORD src1_sel:WORD_1
	s_waitcnt lgkmcnt(3)
	v_add_f16_e32 v17, v17, v10
	v_add_f16_sdwa v20, v20, v10 dst_sel:DWORD dst_unused:UNUSED_PAD src0_sel:DWORD src1_sel:WORD_1
	v_add_f16_e32 v17, v17, v11
	v_add_f16_sdwa v20, v20, v11 dst_sel:DWORD dst_unused:UNUSED_PAD src0_sel:DWORD src1_sel:WORD_1
	s_waitcnt lgkmcnt(2)
	v_add_f16_e32 v17, v17, v12
	v_add_f16_sdwa v20, v20, v12 dst_sel:DWORD dst_unused:UNUSED_PAD src0_sel:DWORD src1_sel:WORD_1
	;; [unrolled: 5-line block ×4, first 2 shown]
	v_add_f16_e32 v21, v17, v19
	v_add_f16_e32 v17, v19, v0
	v_add_f16_sdwa v22, v19, v0 dst_sel:DWORD dst_unused:UNUSED_PAD src0_sel:WORD_1 src1_sel:WORD_1
	v_sub_f16_e32 v23, v0, v19
	v_sub_f16_sdwa v0, v0, v19 dst_sel:DWORD dst_unused:UNUSED_PAD src0_sel:WORD_1 src1_sel:WORD_1
	v_add_f16_sdwa v20, v20, v19 dst_sel:DWORD dst_unused:UNUSED_PAD src0_sel:DWORD src1_sel:WORD_1
	v_mul_f16_e32 v19, 0xb853, v0
	v_mul_f16_e32 v25, 0xb853, v23
	;; [unrolled: 1-line block ×3, first 2 shown]
	s_movk_i32 s0, 0x36a6
	v_mul_f16_e32 v29, 0xbb47, v23
	v_mul_f16_e32 v31, 0xbbeb, v0
	s_mov_b32 s1, 0xb08e
	v_mul_f16_e32 v33, 0xbbeb, v23
	v_mul_f16_e32 v35, 0xba0c, v0
	s_mov_b32 s3, 0xb93d
	;; [unrolled: 3-line block ×3, first 2 shown]
	v_mul_f16_e32 v23, 0xb482, v23
	v_fma_f16 v24, v17, s2, -v19
	v_fma_f16 v26, v22, s2, v25
	v_fma_f16 v19, v17, s2, v19
	v_fma_f16 v25, v22, s2, -v25
	v_fma_f16 v28, v17, s0, -v27
	v_fma_f16 v30, v22, s0, v29
	v_fma_f16 v27, v17, s0, v27
	v_fma_f16 v29, v22, s0, -v29
	;; [unrolled: 4-line block ×5, first 2 shown]
	v_add_f16_e32 v24, v8, v24
	v_add_f16_sdwa v26, v8, v26 dst_sel:DWORD dst_unused:UNUSED_PAD src0_sel:WORD_1 src1_sel:DWORD
	v_add_f16_e32 v19, v8, v19
	v_add_f16_sdwa v25, v8, v25 dst_sel:DWORD dst_unused:UNUSED_PAD src0_sel:WORD_1 src1_sel:DWORD
	;; [unrolled: 2-line block ×10, first 2 shown]
	v_add_f16_e32 v17, v18, v1
	v_add_f16_sdwa v22, v18, v1 dst_sel:DWORD dst_unused:UNUSED_PAD src0_sel:WORD_1 src1_sel:WORD_1
	v_sub_f16_e32 v23, v1, v18
	v_sub_f16_sdwa v1, v1, v18 dst_sel:DWORD dst_unused:UNUSED_PAD src0_sel:WORD_1 src1_sel:WORD_1
	v_mul_f16_e32 v18, 0xbb47, v1
	v_fma_f16 v41, v17, s0, -v18
	v_add_f16_e32 v24, v41, v24
	v_mul_f16_e32 v41, 0xbb47, v23
	v_fma_f16 v18, v17, s0, v18
	v_add_f16_e32 v18, v18, v19
	v_fma_f16 v19, v22, s0, -v41
	v_add_f16_e32 v19, v19, v25
	v_mul_f16_e32 v25, 0xba0c, v1
	v_fma_f16 v42, v22, s0, v41
	v_fma_f16 v41, v17, s3, -v25
	v_add_f16_e32 v28, v41, v28
	v_mul_f16_e32 v41, 0xba0c, v23
	v_fma_f16 v25, v17, s3, v25
	v_add_f16_e32 v25, v25, v27
	v_fma_f16 v27, v22, s3, -v41
	v_add_f16_e32 v27, v27, v29
	v_mul_f16_e32 v29, 0x3482, v1
	v_add_f16_e32 v26, v42, v26
	v_fma_f16 v42, v22, s3, v41
	v_fma_f16 v41, v17, s4, -v29
	v_add_f16_e32 v32, v41, v32
	v_mul_f16_e32 v41, 0x3482, v23
	v_fma_f16 v29, v17, s4, v29
	v_add_f16_e32 v29, v29, v31
	v_fma_f16 v31, v22, s4, -v41
	v_add_f16_e32 v31, v31, v33
	v_mul_f16_e32 v33, 0x3beb, v1
	v_add_f16_e32 v30, v42, v30
	v_fma_f16 v42, v22, s4, v41
	v_fma_f16 v41, v17, s1, -v33
	v_add_f16_e32 v36, v41, v36
	v_mul_f16_e32 v41, 0x3beb, v23
	v_fma_f16 v33, v17, s1, v33
	v_add_f16_e32 v33, v33, v35
	v_fma_f16 v35, v22, s1, -v41
	v_mul_f16_e32 v1, 0x3853, v1
	v_add_f16_e32 v35, v35, v37
	v_fma_f16 v37, v17, s2, -v1
	v_mul_f16_e32 v23, 0x3853, v23
	v_fma_f16 v1, v17, s2, v1
	v_add_f16_e32 v0, v1, v0
	v_fma_f16 v1, v22, s2, -v23
	v_add_f16_e32 v34, v42, v34
	v_fma_f16 v42, v22, s1, v41
	v_add_f16_e32 v37, v37, v39
	v_fma_f16 v39, v22, s2, v23
	v_add_f16_e32 v1, v1, v8
	v_add_f16_e32 v8, v15, v10
	v_add_f16_sdwa v17, v15, v10 dst_sel:DWORD dst_unused:UNUSED_PAD src0_sel:WORD_1 src1_sel:WORD_1
	v_sub_f16_e32 v22, v10, v15
	v_sub_f16_sdwa v10, v10, v15 dst_sel:DWORD dst_unused:UNUSED_PAD src0_sel:WORD_1 src1_sel:WORD_1
	v_mul_f16_e32 v15, 0xbbeb, v10
	v_fma_f16 v23, v8, s1, -v15
	v_add_f16_e32 v23, v23, v24
	v_mul_f16_e32 v24, 0xbbeb, v22
	v_fma_f16 v15, v8, s1, v15
	v_add_f16_e32 v15, v15, v18
	v_fma_f16 v18, v17, s1, -v24
	v_add_f16_e32 v18, v18, v19
	v_mul_f16_e32 v19, 0x3482, v10
	v_add_f16_e32 v39, v39, v40
	v_fma_f16 v40, v17, s1, v24
	v_fma_f16 v24, v8, s4, -v19
	v_add_f16_e32 v24, v24, v28
	v_mul_f16_e32 v28, 0x3482, v22
	v_fma_f16 v19, v8, s4, v19
	v_add_f16_e32 v19, v19, v25
	v_fma_f16 v25, v17, s4, -v28
	v_add_f16_e32 v25, v25, v27
	v_mul_f16_e32 v27, 0x3b47, v10
	v_add_f16_e32 v26, v40, v26
	v_fma_f16 v40, v17, s4, v28
	;; [unrolled: 10-line block ×3, first 2 shown]
	v_fma_f16 v32, v8, s2, -v31
	v_add_f16_e32 v32, v32, v36
	v_mul_f16_e32 v36, 0xb853, v22
	v_fma_f16 v31, v8, s2, v31
	v_add_f16_e32 v31, v31, v33
	v_fma_f16 v33, v17, s2, -v36
	v_mul_f16_e32 v10, 0xba0c, v10
	v_add_f16_e32 v33, v33, v35
	v_fma_f16 v35, v8, s3, -v10
	v_mul_f16_e32 v22, 0xba0c, v22
	v_fma_f16 v8, v8, s3, v10
	v_add_f16_e32 v0, v8, v0
	v_fma_f16 v8, v17, s3, -v22
	v_add_f16_e32 v34, v40, v34
	v_fma_f16 v40, v17, s2, v36
	v_fma_f16 v36, v17, s3, v22
	v_add_f16_e32 v1, v8, v1
	v_add_f16_e32 v8, v14, v11
	v_add_f16_sdwa v10, v14, v11 dst_sel:DWORD dst_unused:UNUSED_PAD src0_sel:WORD_1 src1_sel:WORD_1
	v_sub_f16_e32 v17, v11, v14
	v_sub_f16_sdwa v11, v11, v14 dst_sel:DWORD dst_unused:UNUSED_PAD src0_sel:WORD_1 src1_sel:WORD_1
	v_mul_f16_e32 v14, 0xba0c, v11
	v_fma_f16 v22, v8, s3, -v14
	v_add_f16_e32 v22, v22, v23
	v_mul_f16_e32 v23, 0xba0c, v17
	v_fma_f16 v14, v8, s3, v14
	v_add_f16_e32 v14, v14, v15
	v_fma_f16 v15, v10, s3, -v23
	v_add_f16_e32 v15, v15, v18
	v_mul_f16_e32 v18, 0x3beb, v11
	v_add_f16_e32 v35, v35, v37
	v_fma_f16 v37, v10, s3, v23
	v_fma_f16 v23, v8, s1, -v18
	v_add_f16_e32 v23, v23, v24
	v_mul_f16_e32 v24, 0x3beb, v17
	v_fma_f16 v18, v8, s1, v18
	v_add_f16_e32 v26, v37, v26
	v_fma_f16 v37, v10, s1, v24
	v_add_f16_e32 v18, v18, v19
	v_fma_f16 v19, v10, s1, -v24
	v_mul_f16_e32 v24, 0xb853, v11
	v_add_f16_e32 v19, v19, v25
	v_fma_f16 v25, v8, s2, -v24
	v_add_f16_e32 v25, v25, v28
	v_mul_f16_e32 v28, 0xb853, v17
	v_fma_f16 v24, v8, s2, v24
	v_add_f16_e32 v30, v37, v30
	v_fma_f16 v37, v10, s2, v28
	v_add_f16_e32 v24, v24, v27
	v_fma_f16 v27, v10, s2, -v28
	v_mul_f16_e32 v28, 0xb482, v11
	v_add_f16_e32 v27, v27, v29
	v_fma_f16 v29, v8, s4, -v28
	v_add_f16_e32 v29, v29, v32
	v_mul_f16_e32 v32, 0xb482, v17
	v_fma_f16 v28, v8, s4, v28
	v_add_f16_e32 v38, v42, v38
	v_add_f16_e32 v28, v28, v31
	v_fma_f16 v31, v10, s4, -v32
	v_mul_f16_e32 v11, 0x3b47, v11
	v_mul_f16_e32 v17, 0x3b47, v17
	v_add_f16_e32 v38, v40, v38
	v_add_f16_e32 v36, v36, v39
	v_add_f16_e32 v34, v37, v34
	v_fma_f16 v37, v10, s4, v32
	v_add_f16_e32 v31, v31, v33
	v_fma_f16 v32, v8, s0, -v11
	v_fma_f16 v33, v10, s0, v17
	v_fma_f16 v8, v8, s0, v11
	v_add_f16_e32 v37, v37, v38
	v_add_f16_e32 v32, v32, v35
	;; [unrolled: 1-line block ×4, first 2 shown]
	v_fma_f16 v0, v10, s0, -v17
	v_add_f16_e32 v35, v13, v12
	v_add_f16_sdwa v36, v13, v12 dst_sel:DWORD dst_unused:UNUSED_PAD src0_sel:WORD_1 src1_sel:WORD_1
	v_sub_f16_e32 v38, v12, v13
	v_sub_f16_sdwa v12, v12, v13 dst_sel:DWORD dst_unused:UNUSED_PAD src0_sel:WORD_1 src1_sel:WORD_1
	v_add_f16_e32 v10, v0, v1
	v_mul_f16_e32 v0, 0xb482, v12
	v_fma_f16 v1, v35, s4, -v0
	v_add_f16_e32 v13, v1, v22
	v_mul_f16_e32 v1, 0xb482, v38
	v_fma_f16 v8, v36, s4, v1
	v_fma_f16 v0, v35, s4, v0
	v_add_f16_e32 v22, v8, v26
	v_add_f16_e32 v8, v0, v14
	v_fma_f16 v0, v36, s4, -v1
	v_add_f16_e32 v17, v0, v15
	v_mul_f16_e32 v0, 0x3853, v12
	v_fma_f16 v1, v35, s2, -v0
	v_mul_f16_e32 v15, 0x3853, v38
	v_add_f16_e32 v14, v1, v23
	v_fma_f16 v1, v36, s2, v15
	v_fma_f16 v0, v35, s2, v0
	v_add_f16_e32 v23, v1, v30
	v_add_f16_e32 v1, v0, v18
	v_fma_f16 v0, v36, s2, -v15
	v_add_f16_e32 v19, v0, v19
	v_mul_f16_e32 v0, 0xba0c, v12
	v_fma_f16 v15, v35, s3, -v0
	v_fma_f16 v0, v35, s3, v0
	v_mul_f16_e32 v18, 0xba0c, v38
	v_add_f16_e32 v0, v0, v24
	v_mul_f16_e32 v24, 0x3b47, v12
	v_add_f16_e32 v15, v15, v25
	v_fma_f16 v25, v36, s3, v18
	v_fma_f16 v18, v36, s3, -v18
	v_fma_f16 v26, v35, s0, -v24
	v_fma_f16 v24, v35, s0, v24
	v_mul_f16_e32 v12, 0xbbeb, v12
	v_add_f16_e32 v18, v18, v27
	v_mul_f16_e32 v27, 0x3b47, v38
	v_add_f16_e32 v24, v24, v28
	v_fma_f16 v28, v35, s1, -v12
	v_mul_f16_e32 v30, 0xbbeb, v38
	v_fma_f16 v12, v35, s1, v12
	v_add_f16_e32 v26, v26, v29
	v_fma_f16 v29, v36, s0, v27
	v_fma_f16 v27, v36, s0, -v27
	v_add_f16_e32 v11, v12, v11
	v_fma_f16 v12, v36, s1, -v30
	v_add_f16_e32 v25, v25, v34
	v_add_f16_e32 v27, v27, v31
	v_fma_f16 v31, v36, s1, v30
	v_add_f16_e32 v10, v12, v10
	v_mad_u32_u24 v12, v6, 40, v7
	v_pack_b32_f16 v13, v13, v22
	v_pack_b32_f16 v20, v21, v20
	v_add_f16_e32 v29, v29, v37
	v_add_f16_e32 v28, v28, v32
	;; [unrolled: 1-line block ×3, first 2 shown]
	s_waitcnt lgkmcnt(0)
	; wave barrier
	ds_write2_b32 v12, v20, v13 offset1:1
	v_pack_b32_f16 v13, v15, v25
	v_pack_b32_f16 v14, v14, v23
	ds_write2_b32 v12, v14, v13 offset0:2 offset1:3
	v_pack_b32_f16 v13, v28, v31
	v_pack_b32_f16 v14, v26, v29
	ds_write2_b32 v12, v14, v13 offset0:4 offset1:5
	;; [unrolled: 3-line block ×4, first 2 shown]
	v_pack_b32_f16 v10, v8, v17
	ds_write_b32 v12, v10 offset:40
	s_waitcnt lgkmcnt(0)
	; wave barrier
	s_waitcnt lgkmcnt(0)
	ds_read2_b32 v[10:11], v7 offset0:4 offset1:11
	ds_read2_b32 v[12:13], v7 offset0:15 offset1:22
	;; [unrolled: 1-line block ×3, first 2 shown]
	ds_read_b32 v21, v9
	ds_read_b32 v23, v7 offset:148
	v_cmp_eq_u32_e64 s[0:1], 3, v6
	v_cmp_ne_u32_e64 s[2:3], 3, v6
                                        ; implicit-def: $vgpr20
	s_and_saveexec_b64 s[4:5], s[2:3]
	s_cbranch_execz .LBB0_23
; %bb.22:
	ds_read2_b32 v[0:1], v7 offset0:8 offset1:19
	ds_read2_b32 v[8:9], v7 offset0:30 offset1:41
	ds_read_u16 v17, v7 offset:122
	s_waitcnt lgkmcnt(2)
	v_lshrrev_b32_e32 v18, 16, v0
	s_waitcnt lgkmcnt(1)
	v_lshrrev_b32_e32 v20, 16, v9
	v_lshrrev_b32_e32 v19, 16, v1
.LBB0_23:
	s_or_b64 exec, exec, s[4:5]
	v_mul_u32_u24_e32 v22, 3, v6
	v_lshlrev_b32_e32 v27, 2, v22
	global_load_dwordx3 v[24:26], v27, s[8:9]
	global_load_dwordx3 v[28:30], v27, s[8:9] offset:48
	s_waitcnt lgkmcnt(0)
	v_lshrrev_b32_e32 v32, 16, v23
	v_lshrrev_b32_e32 v33, 16, v14
	;; [unrolled: 1-line block ×8, first 2 shown]
	s_waitcnt lgkmcnt(0)
	; wave barrier
	s_waitcnt vmcnt(1)
	v_mul_f16_sdwa v38, v24, v37 dst_sel:DWORD dst_unused:UNUSED_PAD src0_sel:WORD_1 src1_sel:DWORD
	v_mul_f16_sdwa v39, v24, v11 dst_sel:DWORD dst_unused:UNUSED_PAD src0_sel:WORD_1 src1_sel:DWORD
	v_mul_f16_sdwa v40, v25, v36 dst_sel:DWORD dst_unused:UNUSED_PAD src0_sel:WORD_1 src1_sel:DWORD
	v_mul_f16_sdwa v41, v25, v13 dst_sel:DWORD dst_unused:UNUSED_PAD src0_sel:WORD_1 src1_sel:DWORD
	v_mul_f16_sdwa v42, v26, v35 dst_sel:DWORD dst_unused:UNUSED_PAD src0_sel:WORD_1 src1_sel:DWORD
	v_mul_f16_sdwa v43, v26, v15 dst_sel:DWORD dst_unused:UNUSED_PAD src0_sel:WORD_1 src1_sel:DWORD
	s_waitcnt vmcnt(0)
	v_mul_f16_sdwa v44, v28, v34 dst_sel:DWORD dst_unused:UNUSED_PAD src0_sel:WORD_1 src1_sel:DWORD
	v_mul_f16_sdwa v45, v28, v12 dst_sel:DWORD dst_unused:UNUSED_PAD src0_sel:WORD_1 src1_sel:DWORD
	;; [unrolled: 1-line block ×6, first 2 shown]
	v_fma_f16 v11, v24, v11, -v38
	v_fma_f16 v24, v24, v37, v39
	v_fma_f16 v13, v25, v13, -v40
	v_fma_f16 v25, v25, v36, v41
	;; [unrolled: 2-line block ×6, first 2 shown]
	v_sub_f16_e32 v13, v21, v13
	v_sub_f16_e32 v25, v27, v25
	v_sub_f16_e32 v15, v11, v15
	v_sub_f16_e32 v26, v24, v26
	v_sub_f16_e32 v14, v10, v14
	v_sub_f16_e32 v29, v31, v29
	v_sub_f16_e32 v23, v12, v23
	v_sub_f16_e32 v30, v28, v30
	v_fma_f16 v21, v21, 2.0, -v13
	v_fma_f16 v27, v27, 2.0, -v25
	;; [unrolled: 1-line block ×4, first 2 shown]
	v_sub_f16_e32 v26, v13, v26
	v_add_f16_e32 v15, v25, v15
	v_fma_f16 v10, v10, 2.0, -v14
	v_fma_f16 v31, v31, 2.0, -v29
	;; [unrolled: 1-line block ×4, first 2 shown]
	v_sub_f16_e32 v30, v14, v30
	v_add_f16_e32 v23, v29, v23
	v_sub_f16_e32 v11, v21, v11
	v_sub_f16_e32 v24, v27, v24
	v_fma_f16 v13, v13, 2.0, -v26
	v_fma_f16 v25, v25, 2.0, -v15
	v_sub_f16_e32 v12, v10, v12
	v_sub_f16_e32 v28, v31, v28
	v_fma_f16 v14, v14, 2.0, -v30
	v_fma_f16 v29, v29, 2.0, -v23
	v_pack_b32_f16 v15, v26, v15
	v_fma_f16 v21, v21, 2.0, -v11
	v_fma_f16 v26, v27, 2.0, -v24
	;; [unrolled: 1-line block ×4, first 2 shown]
	v_pack_b32_f16 v13, v13, v25
	v_pack_b32_f16 v11, v11, v24
	;; [unrolled: 1-line block ×5, first 2 shown]
	ds_write_b32 v7, v15 offset:132
	v_pack_b32_f16 v15, v21, v26
	ds_write2_b32 v7, v13, v11 offset0:11 offset1:22
	v_pack_b32_f16 v10, v10, v27
	ds_write2_b32 v7, v14, v12 offset0:15 offset1:26
	ds_write2_b32 v7, v15, v10 offset1:4
	ds_write_b32 v7, v23 offset:148
	s_and_saveexec_b64 s[4:5], s[2:3]
	s_cbranch_execz .LBB0_25
; %bb.24:
	v_add_u32_e32 v10, 24, v22
	v_cndmask_b32_e64 v10, v10, 0, s[0:1]
	v_lshlrev_b32_e32 v10, 2, v10
	global_load_dwordx3 v[10:12], v10, s[8:9]
	s_waitcnt vmcnt(0)
	v_mul_f16_sdwa v13, v17, v11 dst_sel:DWORD dst_unused:UNUSED_PAD src0_sel:DWORD src1_sel:WORD_1
	v_mul_f16_sdwa v14, v1, v10 dst_sel:DWORD dst_unused:UNUSED_PAD src0_sel:DWORD src1_sel:WORD_1
	;; [unrolled: 1-line block ×6, first 2 shown]
	v_fma_f16 v8, v8, v11, -v13
	v_fma_f16 v13, v19, v10, v14
	v_fma_f16 v14, v20, v12, v15
	;; [unrolled: 1-line block ×3, first 2 shown]
	v_fma_f16 v1, v1, v10, -v22
	v_fma_f16 v9, v9, v12, -v23
	v_sub_f16_e32 v8, v0, v8
	v_sub_f16_e32 v10, v13, v14
	;; [unrolled: 1-line block ×5, first 2 shown]
	v_add_f16_e32 v14, v11, v9
	v_fma_f16 v0, v0, 2.0, -v8
	v_fma_f16 v1, v1, 2.0, -v9
	v_fma_f16 v9, v18, 2.0, -v11
	v_fma_f16 v10, v13, 2.0, -v10
	v_sub_f16_e32 v1, v0, v1
	v_sub_f16_e32 v10, v9, v10
	v_fma_f16 v8, v8, 2.0, -v12
	v_fma_f16 v11, v11, 2.0, -v14
	;; [unrolled: 1-line block ×4, first 2 shown]
	v_pack_b32_f16 v8, v8, v11
	v_pack_b32_f16 v0, v0, v9
	v_pack_b32_f16 v12, v12, v14
	v_pack_b32_f16 v1, v1, v10
	ds_write2_b32 v7, v0, v8 offset0:8 offset1:19
	ds_write2_b32 v7, v1, v12 offset0:30 offset1:41
.LBB0_25:
	s_or_b64 exec, exec, s[4:5]
	s_waitcnt lgkmcnt(0)
	; wave barrier
	s_waitcnt lgkmcnt(0)
	s_and_saveexec_b64 s[0:1], vcc
	s_cbranch_execz .LBB0_27
; %bb.26:
	v_mul_lo_u32 v7, s11, v4
	v_mul_lo_u32 v5, s10, v5
	v_mad_u64_u32 v[0:1], s[0:1], s10, v4, 0
	v_lshl_add_u32 v10, v6, 2, v16
	v_add3_u32 v1, v1, v5, v7
	ds_read2_b32 v[4:5], v10 offset1:4
	v_lshl_add_u64 v[0:1], v[0:1], 2, s[6:7]
	v_mov_b32_e32 v7, 0
	v_lshl_add_u64 v[0:1], v[2:3], 2, v[0:1]
	v_lshl_add_u64 v[2:3], v[6:7], 2, v[0:1]
	ds_read2_b32 v[8:9], v10 offset0:8 offset1:12
	s_waitcnt lgkmcnt(1)
	global_store_dword v[2:3], v4, off
	v_add_u32_e32 v2, 4, v6
	v_mov_b32_e32 v3, v7
	v_lshl_add_u64 v[2:3], v[2:3], 2, v[0:1]
	global_store_dword v[2:3], v5, off
	v_add_u32_e32 v2, 8, v6
	v_mov_b32_e32 v3, v7
	v_lshl_add_u64 v[2:3], v[2:3], 2, v[0:1]
	ds_read2_b32 v[4:5], v10 offset0:16 offset1:20
	s_waitcnt lgkmcnt(1)
	global_store_dword v[2:3], v8, off
	v_add_u32_e32 v2, 12, v6
	v_mov_b32_e32 v3, v7
	v_lshl_add_u64 v[2:3], v[2:3], 2, v[0:1]
	global_store_dword v[2:3], v9, off
	v_add_u32_e32 v2, 16, v6
	v_mov_b32_e32 v3, v7
	;; [unrolled: 10-line block ×4, first 2 shown]
	v_lshl_add_u64 v[2:3], v[2:3], 2, v[0:1]
	s_waitcnt lgkmcnt(0)
	global_store_dword v[2:3], v4, off
	ds_read_b32 v4, v10 offset:160
	v_add_u32_e32 v2, 36, v6
	v_mov_b32_e32 v3, v7
	v_add_u32_e32 v6, 40, v6
	v_lshl_add_u64 v[2:3], v[2:3], 2, v[0:1]
	v_lshl_add_u64 v[0:1], v[6:7], 2, v[0:1]
	global_store_dword v[2:3], v5, off
	s_waitcnt lgkmcnt(0)
	global_store_dword v[0:1], v4, off
.LBB0_27:
	s_endpgm
	.section	.rodata,"a",@progbits
	.p2align	6, 0x0
	.amdhsa_kernel fft_rtc_fwd_len44_factors_11_4_wgs_64_tpt_4_halfLds_half_op_CI_CI_unitstride_sbrr_C2R_dirReg
		.amdhsa_group_segment_fixed_size 0
		.amdhsa_private_segment_fixed_size 0
		.amdhsa_kernarg_size 104
		.amdhsa_user_sgpr_count 2
		.amdhsa_user_sgpr_dispatch_ptr 0
		.amdhsa_user_sgpr_queue_ptr 0
		.amdhsa_user_sgpr_kernarg_segment_ptr 1
		.amdhsa_user_sgpr_dispatch_id 0
		.amdhsa_user_sgpr_kernarg_preload_length 0
		.amdhsa_user_sgpr_kernarg_preload_offset 0
		.amdhsa_user_sgpr_private_segment_size 0
		.amdhsa_uses_dynamic_stack 0
		.amdhsa_enable_private_segment 0
		.amdhsa_system_sgpr_workgroup_id_x 1
		.amdhsa_system_sgpr_workgroup_id_y 0
		.amdhsa_system_sgpr_workgroup_id_z 0
		.amdhsa_system_sgpr_workgroup_info 0
		.amdhsa_system_vgpr_workitem_id 0
		.amdhsa_next_free_vgpr 50
		.amdhsa_next_free_sgpr 28
		.amdhsa_accum_offset 52
		.amdhsa_reserve_vcc 1
		.amdhsa_float_round_mode_32 0
		.amdhsa_float_round_mode_16_64 0
		.amdhsa_float_denorm_mode_32 3
		.amdhsa_float_denorm_mode_16_64 3
		.amdhsa_dx10_clamp 1
		.amdhsa_ieee_mode 1
		.amdhsa_fp16_overflow 0
		.amdhsa_tg_split 0
		.amdhsa_exception_fp_ieee_invalid_op 0
		.amdhsa_exception_fp_denorm_src 0
		.amdhsa_exception_fp_ieee_div_zero 0
		.amdhsa_exception_fp_ieee_overflow 0
		.amdhsa_exception_fp_ieee_underflow 0
		.amdhsa_exception_fp_ieee_inexact 0
		.amdhsa_exception_int_div_zero 0
	.end_amdhsa_kernel
	.text
.Lfunc_end0:
	.size	fft_rtc_fwd_len44_factors_11_4_wgs_64_tpt_4_halfLds_half_op_CI_CI_unitstride_sbrr_C2R_dirReg, .Lfunc_end0-fft_rtc_fwd_len44_factors_11_4_wgs_64_tpt_4_halfLds_half_op_CI_CI_unitstride_sbrr_C2R_dirReg
                                        ; -- End function
	.section	.AMDGPU.csdata,"",@progbits
; Kernel info:
; codeLenInByte = 6176
; NumSgprs: 34
; NumVgprs: 50
; NumAgprs: 0
; TotalNumVgprs: 50
; ScratchSize: 0
; MemoryBound: 0
; FloatMode: 240
; IeeeMode: 1
; LDSByteSize: 0 bytes/workgroup (compile time only)
; SGPRBlocks: 4
; VGPRBlocks: 6
; NumSGPRsForWavesPerEU: 34
; NumVGPRsForWavesPerEU: 50
; AccumOffset: 52
; Occupancy: 8
; WaveLimiterHint : 1
; COMPUTE_PGM_RSRC2:SCRATCH_EN: 0
; COMPUTE_PGM_RSRC2:USER_SGPR: 2
; COMPUTE_PGM_RSRC2:TRAP_HANDLER: 0
; COMPUTE_PGM_RSRC2:TGID_X_EN: 1
; COMPUTE_PGM_RSRC2:TGID_Y_EN: 0
; COMPUTE_PGM_RSRC2:TGID_Z_EN: 0
; COMPUTE_PGM_RSRC2:TIDIG_COMP_CNT: 0
; COMPUTE_PGM_RSRC3_GFX90A:ACCUM_OFFSET: 12
; COMPUTE_PGM_RSRC3_GFX90A:TG_SPLIT: 0
	.text
	.p2alignl 6, 3212836864
	.fill 256, 4, 3212836864
	.type	__hip_cuid_f117066eb71cf29,@object ; @__hip_cuid_f117066eb71cf29
	.section	.bss,"aw",@nobits
	.globl	__hip_cuid_f117066eb71cf29
__hip_cuid_f117066eb71cf29:
	.byte	0                               ; 0x0
	.size	__hip_cuid_f117066eb71cf29, 1

	.ident	"AMD clang version 19.0.0git (https://github.com/RadeonOpenCompute/llvm-project roc-6.4.0 25133 c7fe45cf4b819c5991fe208aaa96edf142730f1d)"
	.section	".note.GNU-stack","",@progbits
	.addrsig
	.addrsig_sym __hip_cuid_f117066eb71cf29
	.amdgpu_metadata
---
amdhsa.kernels:
  - .agpr_count:     0
    .args:
      - .actual_access:  read_only
        .address_space:  global
        .offset:         0
        .size:           8
        .value_kind:     global_buffer
      - .offset:         8
        .size:           8
        .value_kind:     by_value
      - .actual_access:  read_only
        .address_space:  global
        .offset:         16
        .size:           8
        .value_kind:     global_buffer
      - .actual_access:  read_only
        .address_space:  global
        .offset:         24
        .size:           8
        .value_kind:     global_buffer
      - .actual_access:  read_only
        .address_space:  global
        .offset:         32
        .size:           8
        .value_kind:     global_buffer
      - .offset:         40
        .size:           8
        .value_kind:     by_value
      - .actual_access:  read_only
        .address_space:  global
        .offset:         48
        .size:           8
        .value_kind:     global_buffer
      - .actual_access:  read_only
        .address_space:  global
        .offset:         56
        .size:           8
        .value_kind:     global_buffer
      - .offset:         64
        .size:           4
        .value_kind:     by_value
      - .actual_access:  read_only
        .address_space:  global
        .offset:         72
        .size:           8
        .value_kind:     global_buffer
      - .actual_access:  read_only
        .address_space:  global
        .offset:         80
        .size:           8
        .value_kind:     global_buffer
      - .actual_access:  read_only
        .address_space:  global
        .offset:         88
        .size:           8
        .value_kind:     global_buffer
      - .actual_access:  write_only
        .address_space:  global
        .offset:         96
        .size:           8
        .value_kind:     global_buffer
    .group_segment_fixed_size: 0
    .kernarg_segment_align: 8
    .kernarg_segment_size: 104
    .language:       OpenCL C
    .language_version:
      - 2
      - 0
    .max_flat_workgroup_size: 64
    .name:           fft_rtc_fwd_len44_factors_11_4_wgs_64_tpt_4_halfLds_half_op_CI_CI_unitstride_sbrr_C2R_dirReg
    .private_segment_fixed_size: 0
    .sgpr_count:     34
    .sgpr_spill_count: 0
    .symbol:         fft_rtc_fwd_len44_factors_11_4_wgs_64_tpt_4_halfLds_half_op_CI_CI_unitstride_sbrr_C2R_dirReg.kd
    .uniform_work_group_size: 1
    .uses_dynamic_stack: false
    .vgpr_count:     50
    .vgpr_spill_count: 0
    .wavefront_size: 64
amdhsa.target:   amdgcn-amd-amdhsa--gfx950
amdhsa.version:
  - 1
  - 2
...

	.end_amdgpu_metadata
